;; amdgpu-corpus repo=ROCm/rocFFT kind=compiled arch=gfx906 opt=O3
	.text
	.amdgcn_target "amdgcn-amd-amdhsa--gfx906"
	.amdhsa_code_object_version 6
	.protected	fft_rtc_fwd_len240_factors_2_3_4_5_2_wgs_140_tpt_20_dim3_sp_ip_CI_sbcc_twdbase8_2step_dirReg ; -- Begin function fft_rtc_fwd_len240_factors_2_3_4_5_2_wgs_140_tpt_20_dim3_sp_ip_CI_sbcc_twdbase8_2step_dirReg
	.globl	fft_rtc_fwd_len240_factors_2_3_4_5_2_wgs_140_tpt_20_dim3_sp_ip_CI_sbcc_twdbase8_2step_dirReg
	.p2align	8
	.type	fft_rtc_fwd_len240_factors_2_3_4_5_2_wgs_140_tpt_20_dim3_sp_ip_CI_sbcc_twdbase8_2step_dirReg,@function
fft_rtc_fwd_len240_factors_2_3_4_5_2_wgs_140_tpt_20_dim3_sp_ip_CI_sbcc_twdbase8_2step_dirReg: ; @fft_rtc_fwd_len240_factors_2_3_4_5_2_wgs_140_tpt_20_dim3_sp_ip_CI_sbcc_twdbase8_2step_dirReg
; %bb.0:
	s_load_dwordx4 s[0:3], s[4:5], 0x10
	s_mov_b32 s7, 0
	s_mov_b64 s[20:21], 0
	s_waitcnt lgkmcnt(0)
	s_load_dwordx2 s[16:17], s[0:1], 0x8
	s_waitcnt lgkmcnt(0)
	s_add_u32 s8, s16, -1
	s_addc_u32 s9, s17, -1
	s_add_u32 s10, 0, 0x92481000
	s_addc_u32 s11, 0, 0x64
	s_mul_hi_u32 s13, s10, -7
	s_add_i32 s11, s11, 0x249248c0
	s_sub_i32 s13, s13, s10
	s_mul_i32 s18, s11, -7
	s_mul_i32 s12, s10, -7
	s_add_i32 s13, s13, s18
	s_mul_hi_u32 s14, s11, s12
	s_mul_i32 s15, s11, s12
	s_mul_i32 s19, s10, s13
	s_mul_hi_u32 s12, s10, s12
	s_mul_hi_u32 s18, s10, s13
	s_add_u32 s12, s12, s19
	s_addc_u32 s18, 0, s18
	s_add_u32 s12, s12, s15
	s_mul_hi_u32 s19, s11, s13
	s_addc_u32 s12, s18, s14
	s_addc_u32 s14, s19, 0
	s_mul_i32 s13, s11, s13
	s_add_u32 s12, s12, s13
	v_mov_b32_e32 v1, s12
	s_addc_u32 s13, 0, s14
	v_add_co_u32_e32 v1, vcc, s10, v1
	s_cmp_lg_u64 vcc, 0
	s_addc_u32 s10, s11, s13
	v_readfirstlane_b32 s13, v1
	s_mul_i32 s12, s8, s10
	s_mul_hi_u32 s14, s8, s13
	s_mul_hi_u32 s11, s8, s10
	s_add_u32 s12, s14, s12
	s_addc_u32 s11, 0, s11
	s_mul_hi_u32 s15, s9, s13
	s_mul_i32 s13, s9, s13
	s_add_u32 s12, s12, s13
	s_mul_hi_u32 s14, s9, s10
	s_addc_u32 s11, s11, s15
	s_addc_u32 s12, s14, 0
	s_mul_i32 s10, s9, s10
	s_add_u32 s10, s11, s10
	s_addc_u32 s11, 0, s12
	s_add_u32 s12, s10, 1
	s_addc_u32 s13, s11, 0
	s_add_u32 s14, s10, 2
	s_mul_i32 s18, s11, 7
	s_mul_hi_u32 s19, s10, 7
	s_addc_u32 s15, s11, 0
	s_add_i32 s19, s19, s18
	s_mul_i32 s18, s10, 7
	v_mov_b32_e32 v1, s18
	v_sub_co_u32_e32 v1, vcc, s8, v1
	s_cmp_lg_u64 vcc, 0
	s_subb_u32 s8, s9, s19
	v_subrev_co_u32_e32 v2, vcc, 7, v1
	s_cmp_lg_u64 vcc, 0
	s_subb_u32 s9, s8, 0
	v_readfirstlane_b32 s18, v2
	s_cmp_gt_u32 s18, 6
	s_cselect_b32 s18, -1, 0
	s_cmp_eq_u32 s9, 0
	s_cselect_b32 s9, s18, -1
	s_cmp_lg_u32 s9, 0
	s_cselect_b32 s9, s14, s12
	s_cselect_b32 s12, s15, s13
	v_readfirstlane_b32 s13, v1
	s_cmp_gt_u32 s13, 6
	s_cselect_b32 s13, -1, 0
	s_cmp_eq_u32 s8, 0
	s_cselect_b32 s8, s13, -1
	s_cmp_lg_u32 s8, 0
	s_cselect_b32 s9, s9, s10
	s_cselect_b32 s8, s12, s11
	s_add_u32 s18, s9, 1
	s_addc_u32 s19, s8, 0
	v_mov_b32_e32 v1, s18
	v_mov_b32_e32 v2, s19
	v_cmp_lt_u64_e32 vcc, s[6:7], v[1:2]
	s_cbranch_vccnz .LBB0_2
; %bb.1:
	v_cvt_f32_u32_e32 v1, s18
	s_sub_i32 s8, 0, s18
	s_mov_b32 s21, s7
	v_rcp_iflag_f32_e32 v1, v1
	v_mul_f32_e32 v1, 0x4f7ffffe, v1
	v_cvt_u32_f32_e32 v1, v1
	v_readfirstlane_b32 s9, v1
	s_mul_i32 s8, s8, s9
	s_mul_hi_u32 s8, s9, s8
	s_add_i32 s9, s9, s8
	s_mul_hi_u32 s8, s6, s9
	s_mul_i32 s10, s8, s18
	s_sub_i32 s10, s6, s10
	s_add_i32 s9, s8, 1
	s_sub_i32 s11, s10, s18
	s_cmp_ge_u32 s10, s18
	s_cselect_b32 s8, s9, s8
	s_cselect_b32 s10, s11, s10
	s_add_i32 s9, s8, 1
	s_cmp_ge_u32 s10, s18
	s_cselect_b32 s20, s9, s8
.LBB0_2:
	s_load_dwordx2 s[8:9], s[0:1], 0x10
	s_load_dwordx2 s[10:11], s[2:3], 0x8
	s_mov_b64 s[0:1], s[20:21]
	s_waitcnt lgkmcnt(0)
	v_mov_b32_e32 v1, s8
	v_mov_b32_e32 v2, s9
	v_cmp_lt_u64_e32 vcc, s[20:21], v[1:2]
	s_cbranch_vccnz .LBB0_4
; %bb.3:
	v_cvt_f32_u32_e32 v1, s8
	s_sub_i32 s0, 0, s8
	v_rcp_iflag_f32_e32 v1, v1
	v_mul_f32_e32 v1, 0x4f7ffffe, v1
	v_cvt_u32_f32_e32 v1, v1
	v_readfirstlane_b32 s1, v1
	s_mul_i32 s0, s0, s1
	s_mul_hi_u32 s0, s1, s0
	s_add_i32 s1, s1, s0
	s_mul_hi_u32 s0, s20, s1
	s_mul_i32 s0, s0, s8
	s_sub_i32 s0, s20, s0
	s_sub_i32 s1, s0, s8
	s_cmp_ge_u32 s0, s8
	s_cselect_b32 s0, s1, s0
	s_sub_i32 s1, s0, s8
	s_cmp_ge_u32 s0, s8
	s_cselect_b32 s0, s1, s0
.LBB0_4:
	s_mul_i32 s1, s8, s19
	s_mul_hi_u32 s14, s8, s18
	s_add_i32 s1, s14, s1
	s_mul_i32 s9, s9, s18
	s_mul_i32 s14, s8, s18
	s_load_dwordx2 s[12:13], s[4:5], 0x50
	s_add_i32 s15, s1, s9
	s_load_dwordx2 s[8:9], s[2:3], 0x0
	s_load_dwordx2 s[22:23], s[2:3], 0x10
	v_mov_b32_e32 v1, s14
	v_mov_b32_e32 v2, s15
	v_cmp_lt_u64_e32 vcc, s[6:7], v[1:2]
	s_mov_b64 s[24:25], 0
	s_cbranch_vccnz .LBB0_6
; %bb.5:
	v_cvt_f32_u32_e32 v1, s14
	s_sub_i32 s1, 0, s14
	v_rcp_iflag_f32_e32 v1, v1
	v_mul_f32_e32 v1, 0x4f7ffffe, v1
	v_cvt_u32_f32_e32 v1, v1
	v_readfirstlane_b32 s7, v1
	s_mul_i32 s1, s1, s7
	s_mul_hi_u32 s1, s7, s1
	s_add_i32 s7, s7, s1
	s_mul_hi_u32 s1, s6, s7
	s_mul_i32 s15, s1, s14
	s_sub_i32 s15, s6, s15
	s_add_i32 s7, s1, 1
	s_sub_i32 s21, s15, s14
	s_cmp_ge_u32 s15, s14
	s_cselect_b32 s1, s7, s1
	s_cselect_b32 s15, s21, s15
	s_add_i32 s7, s1, 1
	s_cmp_ge_u32 s15, s14
	s_cselect_b32 s24, s7, s1
.LBB0_6:
	s_mul_i32 s1, s20, s19
	s_mul_hi_u32 s7, s20, s18
	s_add_i32 s7, s7, s1
	s_mul_i32 s1, s20, s18
	s_sub_u32 s1, s6, s1
	s_subb_u32 s6, 0, s7
	s_mul_i32 s6, s6, 7
	s_mul_hi_u32 s7, s1, 7
	s_load_dwordx2 s[2:3], s[2:3], 0x18
	s_add_i32 s6, s7, s6
	s_mul_i32 s1, s1, 7
	s_mul_i32 s7, s10, s6
	s_mul_hi_u32 s18, s10, s1
	s_add_i32 s7, s18, s7
	s_mul_i32 s18, s11, s1
	s_waitcnt lgkmcnt(0)
	s_mul_i32 s19, s23, s0
	s_mul_hi_u32 s20, s22, s0
	s_add_i32 s7, s7, s18
	s_mul_i32 s18, s10, s1
	s_add_i32 s20, s20, s19
	s_mul_i32 s0, s22, s0
	v_mul_u32_u24_e32 v1, 0x2493, v0
	s_add_u32 s0, s0, s18
	s_mul_i32 s3, s3, s24
	s_mul_hi_u32 s18, s2, s24
	v_lshrrev_b32_e32 v35, 16, v1
	s_addc_u32 s7, s20, s7
	s_add_i32 s18, s18, s3
	s_mul_i32 s2, s2, s24
	v_mul_lo_u16_e32 v1, 7, v35
	s_add_u32 s2, s2, s0
	v_sub_u16_e32 v33, v0, v1
	s_addc_u32 s3, s18, s7
	v_mov_b32_e32 v1, s6
	v_add_co_u32_e32 v17, vcc, s1, v33
	s_load_dwordx2 s[14:15], s[4:5], 0x0
	v_addc_co_u32_e32 v18, vcc, 0, v1, vcc
	s_add_u32 s0, s1, 7
	v_mov_b32_e32 v1, s16
	s_addc_u32 s1, s6, 0
	v_mov_b32_e32 v2, s17
	v_cmp_gt_u64_e32 vcc, s[0:1], v[1:2]
	v_cmp_le_u64_e64 s[0:1], s[0:1], v[1:2]
	s_cbranch_vccz .LBB0_12
; %bb.7:
	v_cmp_le_u64_e32 vcc, s[16:17], v[17:18]
                                        ; implicit-def: $vgpr34
                                        ; implicit-def: $vgpr36
                                        ; implicit-def: $vgpr37
                                        ; implicit-def: $vgpr38
                                        ; implicit-def: $vgpr39
	s_and_saveexec_b64 s[6:7], vcc
	s_xor_b64 s[6:7], exec, s[6:7]
; %bb.8:
	v_add_u32_e32 v34, 20, v35
	v_add_u32_e32 v36, 40, v35
	;; [unrolled: 1-line block ×5, first 2 shown]
; %bb.9:
	s_or_saveexec_b64 s[6:7], s[6:7]
                                        ; implicit-def: $vgpr1
                                        ; implicit-def: $vgpr9
                                        ; implicit-def: $vgpr15
                                        ; implicit-def: $vgpr13
                                        ; implicit-def: $vgpr23
                                        ; implicit-def: $vgpr19
                                        ; implicit-def: $vgpr11
                                        ; implicit-def: $vgpr21
                                        ; implicit-def: $vgpr25
                                        ; implicit-def: $vgpr3
                                        ; implicit-def: $vgpr7
                                        ; implicit-def: $vgpr5
	s_xor_b64 exec, exec, s[6:7]
	s_cbranch_execz .LBB0_11
; %bb.10:
	v_mad_u64_u32 v[1:2], s[18:19], s10, v33, 0
	v_mad_u64_u32 v[3:4], s[18:19], s8, v35, 0
	v_add_u32_e32 v8, 0x78, v35
	v_add_u32_e32 v34, 20, v35
	v_mad_u64_u32 v[5:6], s[18:19], s11, v33, v[2:3]
	v_mov_b32_e32 v2, v4
	v_mad_u64_u32 v[6:7], s[18:19], s9, v35, v[2:3]
	s_lshl_b64 s[18:19], s[2:3], 3
	s_add_u32 s20, s12, s18
	s_addc_u32 s18, s13, s19
	v_mov_b32_e32 v2, v5
	v_mov_b32_e32 v4, v6
	;; [unrolled: 1-line block ×3, first 2 shown]
	v_mad_u64_u32 v[5:6], s[18:19], s8, v8, 0
	v_lshlrev_b64 v[1:2], 3, v[1:2]
	v_add_u32_e32 v36, 40, v35
	v_add_co_u32_e32 v44, vcc, s20, v1
	v_addc_co_u32_e32 v45, vcc, v7, v2, vcc
	v_lshlrev_b64 v[1:2], 3, v[3:4]
	v_mov_b32_e32 v3, v6
	v_mad_u64_u32 v[3:4], s[18:19], s9, v8, v[3:4]
	v_mad_u64_u32 v[7:8], s[18:19], s8, v34, 0
	v_add_co_u32_e32 v9, vcc, v44, v1
	v_mov_b32_e32 v6, v3
	v_mov_b32_e32 v3, v8
	v_addc_co_u32_e32 v10, vcc, v45, v2, vcc
	v_lshlrev_b64 v[1:2], 3, v[5:6]
	v_mad_u64_u32 v[3:4], s[18:19], s9, v34, v[3:4]
	v_add_u32_e32 v6, 0x8c, v35
	v_mad_u64_u32 v[4:5], s[18:19], s8, v6, 0
	v_mov_b32_e32 v8, v3
	v_add_co_u32_e32 v11, vcc, v44, v1
	v_mov_b32_e32 v3, v5
	v_mad_u64_u32 v[5:6], s[18:19], s9, v6, v[3:4]
	v_addc_co_u32_e32 v12, vcc, v45, v2, vcc
	v_lshlrev_b64 v[1:2], 3, v[7:8]
	v_mad_u64_u32 v[15:16], s[18:19], s8, v36, 0
	v_add_co_u32_e32 v13, vcc, v44, v1
	v_addc_co_u32_e32 v14, vcc, v45, v2, vcc
	v_lshlrev_b64 v[1:2], 3, v[4:5]
	v_add_u32_e32 v24, 0xa0, v35
	v_add_co_u32_e32 v19, vcc, v44, v1
	v_mov_b32_e32 v1, v16
	v_mad_u64_u32 v[21:22], s[18:19], s9, v36, v[1:2]
	v_mad_u64_u32 v[22:23], s[18:19], s8, v24, 0
	v_addc_co_u32_e32 v20, vcc, v45, v2, vcc
	global_load_dwordx2 v[5:6], v[9:10], off
	global_load_dwordx2 v[7:8], v[11:12], off
	;; [unrolled: 1-line block ×4, first 2 shown]
	v_mov_b32_e32 v11, v23
	v_mad_u64_u32 v[11:12], s[18:19], s9, v24, v[11:12]
	v_add_u32_e32 v37, 60, v35
	v_mad_u64_u32 v[12:13], s[18:19], s8, v37, 0
	v_mov_b32_e32 v16, v21
	v_mov_b32_e32 v23, v11
	;; [unrolled: 1-line block ×3, first 2 shown]
	v_lshlrev_b64 v[9:10], 3, v[15:16]
	v_mad_u64_u32 v[19:20], s[18:19], s9, v37, v[11:12]
	v_add_u32_e32 v16, 0xb4, v35
	v_mad_u64_u32 v[20:21], s[18:19], s8, v16, 0
	v_add_co_u32_e32 v14, vcc, v44, v9
	v_addc_co_u32_e32 v15, vcc, v45, v10, vcc
	v_lshlrev_b64 v[9:10], 3, v[22:23]
	v_mov_b32_e32 v13, v19
	v_add_co_u32_e32 v23, vcc, v44, v9
	v_mov_b32_e32 v11, v21
	v_addc_co_u32_e32 v24, vcc, v45, v10, vcc
	v_lshlrev_b64 v[9:10], 3, v[12:13]
	v_mad_u64_u32 v[11:12], s[18:19], s9, v16, v[11:12]
	v_add_u32_e32 v38, 0x50, v35
	v_mad_u64_u32 v[12:13], s[18:19], s8, v38, 0
	v_add_co_u32_e32 v27, vcc, v44, v9
	v_mov_b32_e32 v21, v11
	v_mov_b32_e32 v11, v13
	v_addc_co_u32_e32 v28, vcc, v45, v10, vcc
	v_lshlrev_b64 v[9:10], 3, v[20:21]
	v_mad_u64_u32 v[19:20], s[18:19], s9, v38, v[11:12]
	v_add_u32_e32 v16, 0xc8, v35
	v_mad_u64_u32 v[20:21], s[18:19], s8, v16, 0
	v_add_co_u32_e32 v29, vcc, v44, v9
	v_mov_b32_e32 v13, v19
	;; [unrolled: 8-line block ×3, first 2 shown]
	v_mov_b32_e32 v11, v13
	v_addc_co_u32_e32 v32, vcc, v45, v10, vcc
	v_lshlrev_b64 v[9:10], 3, v[20:21]
	v_mad_u64_u32 v[19:20], s[18:19], s9, v39, v[11:12]
	v_add_u32_e32 v11, 0xdc, v35
	v_add_co_u32_e32 v40, vcc, v44, v9
	v_mov_b32_e32 v13, v19
	v_mad_u64_u32 v[19:20], s[18:19], s8, v11, 0
	v_addc_co_u32_e32 v41, vcc, v45, v10, vcc
	v_lshlrev_b64 v[9:10], 3, v[12:13]
	v_add_co_u32_e32 v42, vcc, v44, v9
	v_mov_b32_e32 v9, v20
	v_mad_u64_u32 v[20:21], s[18:19], s9, v11, v[9:10]
	v_addc_co_u32_e32 v43, vcc, v45, v10, vcc
	global_load_dwordx2 v[25:26], v[14:15], off
	global_load_dwordx2 v[21:22], v[23:24], off
	;; [unrolled: 1-line block ×4, first 2 shown]
	v_lshlrev_b64 v[13:14], 3, v[19:20]
	v_add_co_u32_e32 v27, vcc, v44, v13
	v_addc_co_u32_e32 v28, vcc, v45, v14, vcc
	global_load_dwordx2 v[19:20], v[31:32], off
	global_load_dwordx2 v[23:24], v[40:41], off
	;; [unrolled: 1-line block ×4, first 2 shown]
.LBB0_11:
	s_or_b64 exec, exec, s[6:7]
	s_cbranch_execz .LBB0_13
	s_branch .LBB0_14
.LBB0_12:
                                        ; implicit-def: $vgpr1
                                        ; implicit-def: $vgpr9
                                        ; implicit-def: $vgpr15
                                        ; implicit-def: $vgpr13
                                        ; implicit-def: $vgpr23
                                        ; implicit-def: $vgpr19
                                        ; implicit-def: $vgpr11
                                        ; implicit-def: $vgpr21
                                        ; implicit-def: $vgpr34
                                        ; implicit-def: $vgpr36
                                        ; implicit-def: $vgpr37
                                        ; implicit-def: $vgpr38
                                        ; implicit-def: $vgpr39
                                        ; implicit-def: $vgpr25
                                        ; implicit-def: $vgpr3
                                        ; implicit-def: $vgpr7
                                        ; implicit-def: $vgpr5
.LBB0_13:
	s_waitcnt vmcnt(8)
	v_mad_u64_u32 v[1:2], s[6:7], s10, v33, 0
	v_mad_u64_u32 v[3:4], s[6:7], s8, v35, 0
	v_add_u32_e32 v8, 0x78, v35
	v_add_u32_e32 v34, 20, v35
	v_mad_u64_u32 v[5:6], s[6:7], s11, v33, v[2:3]
	v_mov_b32_e32 v2, v4
	v_mad_u64_u32 v[6:7], s[6:7], s9, v35, v[2:3]
	s_lshl_b64 s[6:7], s[2:3], 3
	s_add_u32 s18, s12, s6
	s_addc_u32 s6, s13, s7
	v_mov_b32_e32 v2, v5
	v_mov_b32_e32 v4, v6
	v_mov_b32_e32 v7, s6
	v_mad_u64_u32 v[5:6], s[6:7], s8, v8, 0
	v_lshlrev_b64 v[1:2], 3, v[1:2]
	v_add_u32_e32 v36, 40, v35
	s_waitcnt vmcnt(4)
	v_add_co_u32_e32 v9, vcc, s18, v1
	v_addc_co_u32_e32 v10, vcc, v7, v2, vcc
	v_lshlrev_b64 v[1:2], 3, v[3:4]
	v_mov_b32_e32 v3, v6
	v_mad_u64_u32 v[3:4], s[6:7], s9, v8, v[3:4]
	v_mad_u64_u32 v[7:8], s[6:7], s8, v34, 0
	v_add_co_u32_e32 v27, vcc, v9, v1
	v_mov_b32_e32 v6, v3
	v_mov_b32_e32 v3, v8
	v_addc_co_u32_e32 v28, vcc, v10, v2, vcc
	v_lshlrev_b64 v[1:2], 3, v[5:6]
	v_mad_u64_u32 v[3:4], s[6:7], s9, v34, v[3:4]
	v_add_u32_e32 v6, 0x8c, v35
	v_mad_u64_u32 v[4:5], s[6:7], s8, v6, 0
	v_mov_b32_e32 v8, v3
	v_add_co_u32_e32 v29, vcc, v9, v1
	v_mov_b32_e32 v3, v5
	v_mad_u64_u32 v[5:6], s[6:7], s9, v6, v[3:4]
	v_addc_co_u32_e32 v30, vcc, v10, v2, vcc
	v_lshlrev_b64 v[1:2], 3, v[7:8]
	v_mad_u64_u32 v[6:7], s[6:7], s8, v36, 0
	v_add_co_u32_e32 v31, vcc, v9, v1
	v_mov_b32_e32 v3, v7
	v_addc_co_u32_e32 v32, vcc, v10, v2, vcc
	v_lshlrev_b64 v[1:2], 3, v[4:5]
	v_mad_u64_u32 v[3:4], s[6:7], s9, v36, v[3:4]
	v_add_u32_e32 v8, 0xa0, v35
	v_mad_u64_u32 v[4:5], s[6:7], s8, v8, 0
	v_add_co_u32_e32 v40, vcc, v9, v1
	v_mov_b32_e32 v7, v3
	v_mov_b32_e32 v3, v5
	v_addc_co_u32_e32 v41, vcc, v10, v2, vcc
	v_lshlrev_b64 v[1:2], 3, v[6:7]
	v_mad_u64_u32 v[5:6], s[6:7], s9, v8, v[3:4]
	v_add_u32_e32 v37, 60, v35
	v_mad_u64_u32 v[6:7], s[6:7], s8, v37, 0
	v_add_co_u32_e32 v42, vcc, v9, v1
	v_mov_b32_e32 v3, v7
	v_addc_co_u32_e32 v43, vcc, v10, v2, vcc
	v_lshlrev_b64 v[1:2], 3, v[4:5]
	v_mad_u64_u32 v[3:4], s[6:7], s9, v37, v[3:4]
	v_add_u32_e32 v8, 0xb4, v35
	v_mad_u64_u32 v[4:5], s[6:7], s8, v8, 0
	v_add_co_u32_e32 v44, vcc, v9, v1
	v_mov_b32_e32 v7, v3
	v_mov_b32_e32 v3, v5
	v_addc_co_u32_e32 v45, vcc, v10, v2, vcc
	v_lshlrev_b64 v[1:2], 3, v[6:7]
	v_mad_u64_u32 v[5:6], s[6:7], s9, v8, v[3:4]
	v_add_u32_e32 v38, 0x50, v35
	;; [unrolled: 15-line block ×3, first 2 shown]
	v_mad_u64_u32 v[6:7], s[6:7], s8, v39, 0
	v_add_co_u32_e32 v50, vcc, v9, v1
	v_mov_b32_e32 v3, v7
	v_addc_co_u32_e32 v51, vcc, v10, v2, vcc
	v_lshlrev_b64 v[1:2], 3, v[4:5]
	v_mad_u64_u32 v[3:4], s[6:7], s9, v39, v[3:4]
	v_add_u32_e32 v8, 0xdc, v35
	v_mad_u64_u32 v[4:5], s[6:7], s8, v8, 0
	v_add_co_u32_e32 v52, vcc, v9, v1
	v_mov_b32_e32 v7, v3
	v_mov_b32_e32 v3, v5
	v_addc_co_u32_e32 v53, vcc, v10, v2, vcc
	v_lshlrev_b64 v[1:2], 3, v[6:7]
	v_mad_u64_u32 v[5:6], s[6:7], s9, v8, v[3:4]
	v_add_co_u32_e32 v54, vcc, v9, v1
	v_addc_co_u32_e32 v55, vcc, v10, v2, vcc
	v_lshlrev_b64 v[1:2], 3, v[4:5]
	v_add_co_u32_e32 v56, vcc, v9, v1
	v_addc_co_u32_e32 v57, vcc, v10, v2, vcc
	global_load_dwordx2 v[5:6], v[27:28], off
	global_load_dwordx2 v[7:8], v[29:30], off
	;; [unrolled: 1-line block ×12, first 2 shown]
.LBB0_14:
	s_waitcnt vmcnt(10)
	v_sub_f32_e32 v7, v5, v7
	v_sub_f32_e32 v8, v6, v8
	v_mul_u32_u24_e32 v27, 0x70, v35
	v_lshlrev_b32_e32 v45, 3, v33
	v_fma_f32 v5, v5, 2.0, -v7
	v_fma_f32 v6, v6, 2.0, -v8
	v_add3_u32 v27, 0, v27, v45
	s_waitcnt vmcnt(8)
	v_sub_f32_e32 v1, v3, v1
	v_sub_f32_e32 v2, v4, v2
	ds_write2_b64 v27, v[5:6], v[7:8] offset1:7
	v_mul_i32_i24_e32 v5, 0x70, v34
	v_fma_f32 v3, v3, 2.0, -v1
	v_fma_f32 v4, v4, 2.0, -v2
	v_add3_u32 v5, 0, v5, v45
	s_waitcnt vmcnt(6)
	v_sub_f32_e32 v21, v25, v21
	v_sub_f32_e32 v22, v26, v22
	ds_write2_b64 v5, v[3:4], v[1:2] offset1:7
	v_mul_i32_i24_e32 v1, 0x70, v36
	;; [unrolled: 8-line block ×4, first 2 shown]
	v_fma_f32 v19, v19, 2.0, -v23
	v_fma_f32 v20, v20, 2.0, -v24
	s_waitcnt vmcnt(0)
	v_sub_f32_e32 v15, v13, v15
	v_sub_f32_e32 v16, v14, v16
	v_add3_u32 v21, 0, v1, v45
	v_mul_i32_i24_e32 v1, 0x70, v39
	v_fma_f32 v13, v13, 2.0, -v15
	v_fma_f32 v14, v14, 2.0, -v16
	ds_write2_b64 v21, v[19:20], v[23:24] offset1:7
	v_add3_u32 v1, 0, v1, v45
	v_and_b32_e32 v23, 1, v35
	ds_write2_b64 v1, v[13:14], v[15:16] offset1:7
	v_lshlrev_b32_e32 v1, 4, v23
	s_waitcnt lgkmcnt(0)
	s_barrier
	global_load_dwordx4 v[3:6], v1, s[14:15]
	v_mul_u32_u24_e32 v1, 56, v35
	v_add3_u32 v40, 0, v1, v45
	s_movk_i32 s6, 0xffc8
	v_add_u32_e32 v1, 0x1c00, v40
	v_add_u32_e32 v15, 0x2400, v40
	;; [unrolled: 1-line block ×3, first 2 shown]
	ds_read2_b64 v[7:10], v1 offset0:84 offset1:224
	ds_read2_b64 v[11:14], v2 offset0:60 offset1:200
	v_mad_i32_i24 v41, v38, s6, v21
	ds_read2_b64 v[19:22], v15 offset0:108 offset1:248
	v_mul_lo_u16_e32 v47, 43, v35
	s_movk_i32 s6, 0xab
	v_cmp_gt_u32_e32 vcc, 56, v0
	s_waitcnt vmcnt(0) lgkmcnt(0)
	v_mul_f32_e32 v28, v6, v19
	v_mul_f32_e32 v29, v6, v22
	;; [unrolled: 1-line block ×6, first 2 shown]
	v_fmac_f32_e32 v28, v5, v20
	v_fma_f32 v20, v5, v21, -v29
	v_fma_f32 v21, v3, v7, -v32
	v_fmac_f32_e32 v46, v3, v8
	ds_read_b64 v[7:8], v41
	v_mul_f32_e32 v15, v6, v10
	v_mul_f32_e32 v25, v4, v14
	;; [unrolled: 1-line block ×4, first 2 shown]
	v_fma_f32 v25, v3, v13, -v25
	v_fma_f32 v13, v5, v9, -v15
	v_mul_i32_i24_e32 v9, 56, v34
	v_mul_f32_e32 v16, v4, v12
	v_mul_f32_e32 v24, v4, v11
	v_fmac_f32_e32 v26, v3, v14
	v_add3_u32 v44, 0, v9, v45
	s_waitcnt lgkmcnt(0)
	v_mul_f32_e32 v14, v4, v8
	v_fma_f32 v16, v3, v11, -v16
	v_fmac_f32_e32 v24, v3, v12
	v_fmac_f32_e32 v31, v5, v10
	ds_read_b64 v[9:10], v44
	ds_read_b64 v[11:12], v40 offset:12320
	v_fma_f32 v14, v3, v7, -v14
	v_mul_f32_e32 v7, v4, v7
	v_fmac_f32_e32 v7, v3, v8
	ds_read_b64 v[3:4], v40
	v_fma_f32 v19, v5, v19, -v27
	s_waitcnt lgkmcnt(1)
	v_mul_f32_e32 v8, v12, v6
	v_mul_f32_e32 v27, v11, v6
	v_add_f32_e32 v6, v14, v13
	v_fmac_f32_e32 v30, v5, v22
	v_fma_f32 v22, v11, v5, -v8
	v_fmac_f32_e32 v27, v12, v5
	s_waitcnt lgkmcnt(0)
	v_add_f32_e32 v5, v3, v14
	v_fma_f32 v3, -0.5, v6, v3
	v_add_f32_e32 v6, v4, v7
	v_add_f32_e32 v6, v6, v31
	v_sub_f32_e32 v15, v7, v31
	v_add_f32_e32 v7, v7, v31
	v_lshrrev_b32_e32 v31, 1, v35
	v_mul_u32_u24_e32 v31, 6, v31
	v_fmac_f32_e32 v4, -0.5, v7
	v_mul_i32_i24_e32 v7, 56, v36
	v_or_b32_e32 v31, v31, v23
	v_sub_f32_e32 v29, v14, v13
	v_add3_u32 v43, 0, v7, v45
	v_mul_i32_i24_e32 v7, 56, v37
	v_mul_u32_u24_e32 v31, 56, v31
	v_add3_u32 v42, 0, v7, v45
	v_mov_b32_e32 v7, v3
	v_mov_b32_e32 v8, v4
	v_add3_u32 v31, 0, v31, v45
	v_fmac_f32_e32 v3, 0xbf5db3d7, v15
	v_fmac_f32_e32 v4, 0x3f5db3d7, v29
	v_add_f32_e32 v5, v5, v13
	ds_read_b64 v[11:12], v43
	ds_read_b64 v[13:14], v42
	s_waitcnt lgkmcnt(0)
	s_barrier
	ds_write_b64 v31, v[3:4] offset:224
	v_add_f32_e32 v3, v16, v19
	v_fmac_f32_e32 v7, 0x3f5db3d7, v15
	v_fmac_f32_e32 v8, 0xbf5db3d7, v29
	v_add_f32_e32 v4, v9, v16
	v_fma_f32 v9, -0.5, v3, v9
	ds_write2_b64 v31, v[5:6], v[7:8] offset1:14
	v_sub_f32_e32 v5, v24, v28
	v_mov_b32_e32 v3, v9
	v_fmac_f32_e32 v3, 0x3f5db3d7, v5
	v_fmac_f32_e32 v9, 0xbf5db3d7, v5
	v_add_f32_e32 v5, v4, v19
	v_add_f32_e32 v4, v10, v24
	;; [unrolled: 1-line block ×4, first 2 shown]
	v_fmac_f32_e32 v10, -0.5, v4
	v_sub_f32_e32 v7, v16, v19
	v_mov_b32_e32 v4, v10
	v_fmac_f32_e32 v4, 0xbf5db3d7, v7
	v_fmac_f32_e32 v10, 0x3f5db3d7, v7
	v_add_f32_e32 v7, v25, v20
	v_add_f32_e32 v8, v11, v25
	v_fma_f32 v11, -0.5, v7, v11
	v_sub_f32_e32 v15, v26, v30
	v_mov_b32_e32 v7, v11
	v_fmac_f32_e32 v7, 0x3f5db3d7, v15
	v_fmac_f32_e32 v11, 0xbf5db3d7, v15
	v_add_f32_e32 v15, v8, v20
	v_add_f32_e32 v8, v12, v26
	v_add_f32_e32 v16, v8, v30
	v_lshrrev_b32_e32 v8, 1, v34
	v_mul_lo_u32 v8, v8, 6
	v_add_f32_e32 v19, v26, v30
	v_fmac_f32_e32 v12, -0.5, v19
	v_sub_f32_e32 v19, v25, v20
	v_or_b32_e32 v8, v8, v23
	v_mul_lo_u32 v20, v8, 56
	v_mov_b32_e32 v8, v12
	v_fmac_f32_e32 v8, 0xbf5db3d7, v19
	v_fmac_f32_e32 v12, 0x3f5db3d7, v19
	v_add3_u32 v19, 0, v20, v45
	ds_write2_b64 v19, v[5:6], v[3:4] offset1:14
	v_add_f32_e32 v3, v21, v22
	v_add_f32_e32 v4, v13, v21
	v_fma_f32 v13, -0.5, v3, v13
	v_sub_f32_e32 v5, v46, v27
	v_mov_b32_e32 v3, v13
	v_fmac_f32_e32 v3, 0x3f5db3d7, v5
	v_fmac_f32_e32 v13, 0xbf5db3d7, v5
	v_add_f32_e32 v5, v4, v22
	v_add_f32_e32 v4, v14, v46
	;; [unrolled: 1-line block ×4, first 2 shown]
	v_fmac_f32_e32 v14, -0.5, v4
	v_sub_f32_e32 v20, v21, v22
	v_mov_b32_e32 v4, v14
	v_lshrrev_b32_e32 v21, 1, v36
	v_fmac_f32_e32 v4, 0xbf5db3d7, v20
	v_mul_lo_u32 v21, v21, 6
	v_fmac_f32_e32 v14, 0x3f5db3d7, v20
	v_lshrrev_b32_e32 v20, 1, v37
	v_mul_lo_u32 v20, v20, 6
	v_or_b32_e32 v21, v21, v23
	v_mul_lo_u32 v21, v21, 56
	ds_write_b64 v19, v[9:10] offset:224
	v_or_b32_e32 v9, v20, v23
	v_mul_lo_u32 v9, v9, 56
	v_add3_u32 v10, 0, v21, v45
	ds_write2_b64 v10, v[15:16], v[7:8] offset1:14
	ds_write_b64 v10, v[11:12] offset:224
	v_mov_b32_e32 v11, 3
	v_add3_u32 v7, 0, v9, v45
	ds_write2_b64 v7, v[5:6], v[3:4] offset1:14
	ds_write_b64 v7, v[13:14] offset:224
	v_mov_b32_e32 v3, 6
	v_mul_lo_u16_sdwa v3, v47, v3 dst_sel:DWORD dst_unused:UNUSED_PAD src0_sel:BYTE_1 src1_sel:DWORD
	v_sub_u16_e32 v31, v35, v3
	v_mul_u32_u24_sdwa v3, v31, v11 dst_sel:DWORD dst_unused:UNUSED_PAD src0_sel:BYTE_0 src1_sel:DWORD
	v_lshlrev_b32_e32 v19, 3, v3
	s_waitcnt lgkmcnt(0)
	s_barrier
	global_load_dwordx4 v[3:6], v19, s[14:15] offset:32
	v_mul_lo_u16_sdwa v46, v34, s6 dst_sel:DWORD dst_unused:UNUSED_PAD src0_sel:BYTE_0 src1_sel:DWORD
	v_lshrrev_b16_e32 v32, 10, v46
	v_mul_lo_u16_e32 v7, 6, v32
	v_sub_u16_e32 v48, v34, v7
	v_mul_u32_u24_sdwa v7, v48, v11 dst_sel:DWORD dst_unused:UNUSED_PAD src0_sel:BYTE_0 src1_sel:DWORD
	v_lshlrev_b32_e32 v20, 3, v7
	global_load_dwordx4 v[7:10], v20, s[14:15] offset:32
	v_mul_lo_u16_sdwa v12, v36, s6 dst_sel:DWORD dst_unused:UNUSED_PAD src0_sel:BYTE_0 src1_sel:DWORD
	v_lshrrev_b16_e32 v49, 10, v12
	v_mul_lo_u16_e32 v12, 6, v49
	v_sub_u16_e32 v50, v36, v12
	v_mul_u32_u24_sdwa v11, v50, v11 dst_sel:DWORD dst_unused:UNUSED_PAD src0_sel:BYTE_0 src1_sel:DWORD
	v_lshlrev_b32_e32 v21, 3, v11
	global_load_dwordx4 v[11:14], v21, s[14:15] offset:32
	global_load_dwordx2 v[15:16], v19, s[14:15] offset:48
	global_load_dwordx2 v[23:24], v20, s[14:15] offset:48
	global_load_dwordx2 v[25:26], v21, s[14:15] offset:48
	ds_read_b64 v[27:28], v42
	v_add_u32_e32 v19, 0x1800, v40
	ds_read2_b64 v[19:22], v19 offset0:72 offset1:212
	ds_read_b64 v[29:30], v43
	s_waitcnt vmcnt(5) lgkmcnt(2)
	v_mul_f32_e32 v51, v4, v28
	v_fma_f32 v51, v3, v27, -v51
	v_mul_f32_e32 v27, v4, v27
	v_fmac_f32_e32 v27, v3, v28
	s_waitcnt lgkmcnt(1)
	v_mul_f32_e32 v3, v6, v20
	v_fma_f32 v28, v5, v19, -v3
	v_mul_f32_e32 v19, v6, v19
	v_add_u32_e32 v3, 0x1000, v40
	v_fmac_f32_e32 v19, v5, v20
	ds_read2_b64 v[3:6], v3 offset0:48 offset1:188
	s_waitcnt vmcnt(4)
	v_mul_f32_e32 v20, v10, v22
	v_fma_f32 v20, v9, v21, -v20
	v_mul_f32_e32 v21, v10, v21
	v_fmac_f32_e32 v21, v9, v22
	s_waitcnt lgkmcnt(0)
	v_mul_f32_e32 v9, v8, v4
	v_fma_f32 v22, v7, v3, -v9
	v_mul_f32_e32 v52, v8, v3
	v_add_u32_e32 v3, 0x2000, v40
	v_fmac_f32_e32 v52, v7, v4
	ds_read2_b64 v[7:10], v3 offset0:96 offset1:236
	s_waitcnt vmcnt(3)
	v_mul_f32_e32 v3, v6, v12
	v_fma_f32 v53, v5, v11, -v3
	v_mul_f32_e32 v54, v5, v12
	v_fmac_f32_e32 v54, v6, v11
	s_waitcnt lgkmcnt(0)
	v_mul_f32_e32 v3, v8, v14
	v_fma_f32 v55, v7, v13, -v3
	v_add_u32_e32 v3, 0x2a00, v40
	ds_read2_b64 v[3:6], v3 offset0:56 offset1:196
	v_mul_f32_e32 v14, v7, v14
	v_fmac_f32_e32 v14, v8, v13
	s_waitcnt vmcnt(2)
	v_mul_f32_e32 v7, v16, v10
	v_mul_f32_e32 v8, v16, v9
	v_fma_f32 v7, v15, v9, -v7
	v_fmac_f32_e32 v8, v15, v10
	s_waitcnt vmcnt(1) lgkmcnt(0)
	v_mul_f32_e32 v9, v4, v24
	v_mul_f32_e32 v15, v3, v24
	v_fma_f32 v13, v3, v23, -v9
	v_fmac_f32_e32 v15, v4, v23
	ds_read_b64 v[3:4], v40
	s_waitcnt vmcnt(0)
	v_mul_f32_e32 v9, v6, v26
	v_mul_f32_e32 v23, v5, v26
	v_fma_f32 v16, v5, v25, -v9
	v_fmac_f32_e32 v23, v6, v25
	ds_read_b64 v[5:6], v44
	s_waitcnt lgkmcnt(1)
	v_sub_f32_e32 v12, v4, v19
	v_sub_f32_e32 v24, v27, v8
	v_fma_f32 v10, v4, 2.0, -v12
	v_fma_f32 v4, v27, 2.0, -v24
	v_sub_f32_e32 v11, v3, v28
	v_sub_f32_e32 v19, v51, v7
	;; [unrolled: 1-line block ×3, first 2 shown]
	v_fma_f32 v9, v3, 2.0, -v11
	v_fma_f32 v3, v51, 2.0, -v19
	;; [unrolled: 1-line block ×3, first 2 shown]
	v_add_f32_e32 v10, v12, v19
	v_mov_b32_e32 v19, 24
	v_mul_u32_u24_sdwa v19, v47, v19 dst_sel:DWORD dst_unused:UNUSED_PAD src0_sel:BYTE_1 src1_sel:DWORD
	v_sub_f32_e32 v3, v9, v3
	v_or_b32_sdwa v19, v19, v31 dst_sel:DWORD dst_unused:UNUSED_PAD src0_sel:DWORD src1_sel:BYTE_0
	v_fma_f32 v7, v9, 2.0, -v3
	v_sub_f32_e32 v9, v11, v24
	v_mul_u32_u24_e32 v19, 56, v19
	v_fma_f32 v11, v11, 2.0, -v9
	v_fma_f32 v12, v12, 2.0, -v10
	v_add3_u32 v19, 0, v19, v45
	s_waitcnt lgkmcnt(0)
	s_barrier
	ds_write2_b64 v19, v[7:8], v[11:12] offset1:42
	ds_write2_b64 v19, v[3:4], v[9:10] offset0:84 offset1:126
	v_sub_f32_e32 v9, v5, v20
	v_sub_f32_e32 v10, v6, v21
	;; [unrolled: 1-line block ×4, first 2 shown]
	v_mul_u32_u24_e32 v11, 24, v32
	v_fma_f32 v5, v5, 2.0, -v9
	v_fma_f32 v6, v6, 2.0, -v10
	;; [unrolled: 1-line block ×4, first 2 shown]
	v_or_b32_sdwa v11, v11, v48 dst_sel:DWORD dst_unused:UNUSED_PAD src0_sel:DWORD src1_sel:BYTE_0
	v_sub_f32_e32 v3, v5, v3
	v_sub_f32_e32 v4, v6, v4
	;; [unrolled: 1-line block ×3, first 2 shown]
	v_add_f32_e32 v8, v10, v8
	v_mul_u32_u24_e32 v11, 56, v11
	v_fma_f32 v5, v5, 2.0, -v3
	v_fma_f32 v6, v6, 2.0, -v4
	;; [unrolled: 1-line block ×4, first 2 shown]
	v_add3_u32 v11, 0, v11, v45
	ds_write2_b64 v11, v[5:6], v[9:10] offset1:42
	v_sub_f32_e32 v9, v29, v55
	v_sub_f32_e32 v10, v30, v14
	;; [unrolled: 1-line block ×4, first 2 shown]
	ds_write2_b64 v11, v[3:4], v[7:8] offset0:84 offset1:126
	v_mul_u32_u24_e32 v3, 24, v49
	v_fma_f32 v5, v29, 2.0, -v9
	v_fma_f32 v6, v30, 2.0, -v10
	v_fma_f32 v14, v53, 2.0, -v12
	v_fma_f32 v15, v54, 2.0, -v13
	v_or_b32_sdwa v3, v3, v50 dst_sel:DWORD dst_unused:UNUSED_PAD src0_sel:DWORD src1_sel:BYTE_0
	v_sub_f32_e32 v19, v5, v14
	v_sub_f32_e32 v20, v6, v15
	;; [unrolled: 1-line block ×3, first 2 shown]
	v_add_f32_e32 v22, v10, v12
	v_mul_u32_u24_e32 v3, 56, v3
	v_fma_f32 v5, v5, 2.0, -v19
	v_fma_f32 v6, v6, 2.0, -v20
	;; [unrolled: 1-line block ×4, first 2 shown]
	v_add3_u32 v3, 0, v3, v45
	ds_write2_b64 v3, v[5:6], v[9:10] offset1:42
	ds_write2_b64 v3, v[19:20], v[21:22] offset0:84 offset1:126
	v_add_u32_e32 v3, 0x800, v40
	s_waitcnt lgkmcnt(0)
	s_barrier
	ds_read2_b64 v[5:8], v3 offset0:80 offset1:220
	v_add_u32_e32 v3, 0x2800, v40
	ds_read_b64 v[31:32], v40
	ds_read_b64 v[29:30], v44
	ds_read2_b64 v[13:16], v2 offset0:32 offset1:172
	ds_read2_b64 v[9:12], v1 offset0:112 offset1:252
	;; [unrolled: 1-line block ×3, first 2 shown]
                                        ; implicit-def: $vgpr28
                                        ; implicit-def: $vgpr26
                                        ; implicit-def: $vgpr24
	s_and_saveexec_b64 s[6:7], vcc
	s_cbranch_execz .LBB0_16
; %bb.15:
	ds_read_b64 v[19:20], v43
	ds_read_b64 v[21:22], v40 offset:4928
	ds_read_b64 v[23:24], v40 offset:7616
	;; [unrolled: 1-line block ×4, first 2 shown]
.LBB0_16:
	s_or_b64 exec, exec, s[6:7]
	v_lshrrev_b16_e32 v55, 10, v47
	v_mul_lo_u16_e32 v47, 24, v55
	v_sub_u16_e32 v47, v35, v47
	v_and_b32_e32 v56, 0xff, v47
	v_lshlrev_b32_e32 v57, 5, v56
	global_load_dwordx4 v[47:50], v57, s[14:15] offset:192
	global_load_dwordx4 v[51:54], v57, s[14:15] offset:176
	s_movk_i32 s6, 0x78
	s_waitcnt vmcnt(0) lgkmcnt(5)
	v_mul_f32_e32 v57, v52, v6
	v_fma_f32 v57, v51, v5, -v57
	v_mul_f32_e32 v58, v52, v5
	s_waitcnt lgkmcnt(2)
	v_mul_f32_e32 v5, v54, v14
	v_fma_f32 v59, v53, v13, -v5
	v_mul_f32_e32 v13, v54, v13
	s_waitcnt lgkmcnt(1)
	v_mul_f32_e32 v5, v48, v10
	v_fmac_f32_e32 v13, v53, v14
	v_fma_f32 v14, v47, v9, -v5
	v_mul_f32_e32 v9, v48, v9
	s_waitcnt lgkmcnt(0)
	v_mul_f32_e32 v5, v50, v2
	v_lshrrev_b16_e32 v54, 12, v46
	v_fmac_f32_e32 v58, v51, v6
	v_fmac_f32_e32 v9, v47, v10
	v_fma_f32 v6, v49, v1, -v5
	v_mul_f32_e32 v10, v50, v1
	v_mul_lo_u16_e32 v1, 24, v54
	v_sub_u16_e32 v1, v34, v1
	v_and_b32_e32 v60, 0xff, v1
	v_lshlrev_b32_e32 v1, 5, v60
	v_fmac_f32_e32 v10, v49, v2
	global_load_dwordx4 v[46:49], v1, s[14:15] offset:192
	global_load_dwordx4 v[50:53], v1, s[14:15] offset:176
	v_add_f32_e32 v2, v59, v14
	s_waitcnt vmcnt(0)
	s_barrier
	v_mul_f32_e32 v1, v51, v8
	v_fma_f32 v61, v50, v7, -v1
	v_mul_f32_e32 v51, v51, v7
	v_mul_f32_e32 v1, v53, v16
	v_fmac_f32_e32 v51, v50, v8
	v_fma_f32 v50, v52, v15, -v1
	v_mul_f32_e32 v53, v53, v15
	v_mul_f32_e32 v1, v47, v12
	v_fmac_f32_e32 v53, v52, v16
	;; [unrolled: 4-line block ×3, first 2 shown]
	v_fma_f32 v46, v48, v3, -v1
	v_mul_f32_e32 v49, v49, v3
	v_fma_f32 v3, -0.5, v2, v31
	v_sub_f32_e32 v2, v58, v10
	v_mov_b32_e32 v5, v3
	v_fmac_f32_e32 v49, v48, v4
	v_fmac_f32_e32 v5, 0x3f737871, v2
	v_sub_f32_e32 v4, v13, v9
	v_sub_f32_e32 v7, v57, v59
	;; [unrolled: 1-line block ×3, first 2 shown]
	v_fmac_f32_e32 v3, 0xbf737871, v2
	v_fmac_f32_e32 v5, 0x3f167918, v4
	v_add_f32_e32 v7, v7, v8
	v_fmac_f32_e32 v3, 0xbf167918, v4
	v_fmac_f32_e32 v5, 0x3e9e377a, v7
	;; [unrolled: 1-line block ×3, first 2 shown]
	v_add_f32_e32 v7, v57, v6
	v_add_f32_e32 v1, v31, v57
	v_fma_f32 v31, -0.5, v7, v31
	v_mov_b32_e32 v7, v31
	v_add_f32_e32 v1, v1, v59
	v_fmac_f32_e32 v7, 0xbf737871, v4
	v_fmac_f32_e32 v31, 0x3f737871, v4
	v_add_f32_e32 v4, v13, v9
	v_add_f32_e32 v1, v1, v14
	v_sub_f32_e32 v8, v59, v57
	v_sub_f32_e32 v11, v14, v6
	v_fma_f32 v4, -0.5, v4, v32
	v_add_f32_e32 v1, v1, v6
	v_fmac_f32_e32 v7, 0x3f167918, v2
	v_add_f32_e32 v8, v8, v11
	v_fmac_f32_e32 v31, 0xbf167918, v2
	v_sub_f32_e32 v11, v57, v6
	v_mov_b32_e32 v6, v4
	v_fmac_f32_e32 v7, 0x3e9e377a, v8
	v_fmac_f32_e32 v31, 0x3e9e377a, v8
	;; [unrolled: 1-line block ×3, first 2 shown]
	v_sub_f32_e32 v12, v59, v14
	v_sub_f32_e32 v8, v58, v13
	;; [unrolled: 1-line block ×3, first 2 shown]
	v_fmac_f32_e32 v4, 0x3f737871, v11
	v_fmac_f32_e32 v6, 0xbf167918, v12
	v_add_f32_e32 v8, v8, v14
	v_fmac_f32_e32 v4, 0x3f167918, v12
	v_add_f32_e32 v2, v32, v58
	v_fmac_f32_e32 v6, 0x3e9e377a, v8
	v_fmac_f32_e32 v4, 0x3e9e377a, v8
	v_add_f32_e32 v8, v58, v10
	v_add_f32_e32 v2, v2, v13
	v_fmac_f32_e32 v32, -0.5, v8
	v_add_f32_e32 v2, v2, v9
	v_mov_b32_e32 v8, v32
	v_add_f32_e32 v2, v2, v10
	v_fmac_f32_e32 v8, 0x3f737871, v12
	v_sub_f32_e32 v9, v9, v10
	v_fmac_f32_e32 v32, 0xbf737871, v12
	v_add_f32_e32 v10, v50, v16
	v_fmac_f32_e32 v8, 0xbf167918, v11
	v_sub_f32_e32 v13, v13, v58
	v_fmac_f32_e32 v32, 0x3f167918, v11
	v_fma_f32 v11, -0.5, v10, v29
	v_add_f32_e32 v9, v13, v9
	v_sub_f32_e32 v10, v51, v49
	v_mov_b32_e32 v13, v11
	v_fmac_f32_e32 v13, 0x3f737871, v10
	v_sub_f32_e32 v12, v53, v47
	v_sub_f32_e32 v14, v61, v50
	v_sub_f32_e32 v15, v46, v16
	v_fmac_f32_e32 v11, 0xbf737871, v10
	v_fmac_f32_e32 v13, 0x3f167918, v12
	v_add_f32_e32 v14, v14, v15
	v_fmac_f32_e32 v11, 0xbf167918, v12
	v_fmac_f32_e32 v13, 0x3e9e377a, v14
	;; [unrolled: 1-line block ×3, first 2 shown]
	v_add_f32_e32 v14, v61, v46
	v_fmac_f32_e32 v8, 0x3e9e377a, v9
	v_fmac_f32_e32 v32, 0x3e9e377a, v9
	v_add_f32_e32 v9, v29, v61
	v_fma_f32 v29, -0.5, v14, v29
	v_mov_b32_e32 v15, v29
	v_add_f32_e32 v9, v9, v50
	v_fmac_f32_e32 v15, 0xbf737871, v12
	v_sub_f32_e32 v14, v50, v61
	v_sub_f32_e32 v48, v16, v46
	v_fmac_f32_e32 v29, 0x3f737871, v12
	v_add_f32_e32 v12, v53, v47
	v_add_f32_e32 v9, v9, v16
	v_fmac_f32_e32 v15, 0x3f167918, v10
	v_add_f32_e32 v14, v14, v48
	v_fmac_f32_e32 v29, 0xbf167918, v10
	v_fma_f32 v12, -0.5, v12, v30
	v_add_f32_e32 v9, v9, v46
	v_fmac_f32_e32 v15, 0x3e9e377a, v14
	v_fmac_f32_e32 v29, 0x3e9e377a, v14
	v_sub_f32_e32 v46, v61, v46
	v_mov_b32_e32 v14, v12
	v_fmac_f32_e32 v14, 0xbf737871, v46
	v_sub_f32_e32 v48, v50, v16
	v_sub_f32_e32 v16, v51, v53
	;; [unrolled: 1-line block ×3, first 2 shown]
	v_fmac_f32_e32 v12, 0x3f737871, v46
	v_fmac_f32_e32 v14, 0xbf167918, v48
	v_add_f32_e32 v16, v16, v50
	v_fmac_f32_e32 v12, 0x3f167918, v48
	v_fmac_f32_e32 v14, 0x3e9e377a, v16
	;; [unrolled: 1-line block ×3, first 2 shown]
	v_add_f32_e32 v16, v51, v49
	v_add_f32_e32 v10, v30, v51
	v_fmac_f32_e32 v30, -0.5, v16
	v_mov_b32_e32 v16, v30
	v_fmac_f32_e32 v16, 0x3f737871, v48
	v_fmac_f32_e32 v30, 0xbf737871, v48
	;; [unrolled: 1-line block ×4, first 2 shown]
	v_mad_u32_u24 v46, v55, s6, v56
	v_mul_u32_u24_e32 v46, 56, v46
	v_add3_u32 v46, 0, v46, v45
	ds_write2_b64 v46, v[1:2], v[5:6] offset1:168
	v_add_u32_e32 v1, 0x800, v46
	v_add_f32_e32 v10, v10, v53
	ds_write2_b64 v1, v[7:8], v[31:32] offset0:80 offset1:248
	ds_write_b64 v46, v[3:4] offset:5376
	v_mad_u32_u24 v1, v54, s6, v60
	v_add_f32_e32 v10, v10, v47
	v_sub_f32_e32 v50, v53, v51
	v_sub_f32_e32 v47, v47, v49
	v_mul_u32_u24_e32 v1, 56, v1
	v_add_f32_e32 v47, v50, v47
	v_add3_u32 v1, 0, v1, v45
	v_add_f32_e32 v10, v10, v49
	v_fmac_f32_e32 v16, 0x3e9e377a, v47
	v_fmac_f32_e32 v30, 0x3e9e377a, v47
	v_add_u32_e32 v2, 0x800, v1
	ds_write2_b64 v1, v[9:10], v[13:14] offset1:168
	ds_write2_b64 v2, v[15:16], v[29:30] offset0:80 offset1:248
	ds_write_b64 v1, v[11:12] offset:5376
	s_and_saveexec_b64 s[6:7], vcc
	s_cbranch_execz .LBB0_18
; %bb.17:
	s_movk_i32 s18, 0xab
	v_mul_lo_u16_sdwa v1, v36, s18 dst_sel:DWORD dst_unused:UNUSED_PAD src0_sel:BYTE_0 src1_sel:DWORD
	v_lshrrev_b16_e32 v1, 12, v1
	v_mul_lo_u16_e32 v1, 24, v1
	v_sub_u16_e32 v9, v36, v1
	v_mov_b32_e32 v1, 5
	v_lshlrev_b32_sdwa v10, v1, v9 dst_sel:DWORD dst_unused:UNUSED_PAD src0_sel:DWORD src1_sel:BYTE_0
	global_load_dwordx4 v[1:4], v10, s[14:15] offset:192
	global_load_dwordx4 v[5:8], v10, s[14:15] offset:176
	v_mov_b32_e32 v10, 56
	v_mul_u32_u24_sdwa v9, v9, v10 dst_sel:DWORD dst_unused:UNUSED_PAD src0_sel:BYTE_0 src1_sel:DWORD
	v_add3_u32 v9, 0, v9, v45
	v_add_u32_e32 v10, 0x1800, v9
	v_add_u32_e32 v11, 0x2400, v9
	s_waitcnt vmcnt(1)
	v_mul_f32_e32 v12, v27, v4
	v_mul_f32_e32 v13, v25, v2
	s_waitcnt vmcnt(0)
	v_mul_f32_e32 v14, v23, v8
	v_mul_f32_e32 v15, v21, v6
	;; [unrolled: 1-line block ×6, first 2 shown]
	v_fmac_f32_e32 v12, v28, v3
	v_fmac_f32_e32 v13, v26, v1
	;; [unrolled: 1-line block ×4, first 2 shown]
	v_fma_f32 v5, v21, v5, -v6
	v_fma_f32 v6, v23, v7, -v8
	;; [unrolled: 1-line block ×4, first 2 shown]
	v_add_f32_e32 v1, v20, v15
	v_add_f32_e32 v2, v19, v5
	;; [unrolled: 1-line block ×6, first 2 shown]
	v_sub_f32_e32 v3, v14, v15
	v_sub_f32_e32 v4, v13, v12
	;; [unrolled: 1-line block ×10, first 2 shown]
	v_add_f32_e32 v14, v1, v14
	v_add_f32_e32 v6, v2, v6
	v_fma_f32 v2, -0.5, v8, v20
	v_fmac_f32_e32 v20, -0.5, v25
	v_fma_f32 v1, -0.5, v28, v19
	v_fmac_f32_e32 v19, -0.5, v31
	v_sub_f32_e32 v24, v12, v13
	v_sub_f32_e32 v27, v7, v16
	v_add_f32_e32 v32, v3, v4
	v_add_f32_e32 v25, v5, v30
	;; [unrolled: 1-line block ×3, first 2 shown]
	v_mov_b32_e32 v4, v2
	v_mov_b32_e32 v6, v20
	v_fmac_f32_e32 v20, 0xbf737871, v21
	v_mov_b32_e32 v3, v1
	v_mov_b32_e32 v5, v19
	v_fmac_f32_e32 v19, 0x3f737871, v15
	v_add_f32_e32 v23, v23, v24
	v_add_f32_e32 v8, v14, v13
	v_fmac_f32_e32 v2, 0x3f737871, v22
	v_fmac_f32_e32 v1, 0xbf737871, v29
	;; [unrolled: 1-line block ×8, first 2 shown]
	v_add_f32_e32 v24, v26, v27
	v_add_f32_e32 v8, v8, v12
	;; [unrolled: 1-line block ×3, first 2 shown]
	v_fmac_f32_e32 v2, 0xbf167918, v21
	v_fmac_f32_e32 v1, 0x3f167918, v15
	v_fmac_f32_e32 v4, 0x3f167918, v21
	v_fmac_f32_e32 v6, 0x3f167918, v22
	v_fmac_f32_e32 v20, 0x3e9e377a, v23
	v_fmac_f32_e32 v3, 0xbf167918, v15
	v_fmac_f32_e32 v5, 0xbf167918, v29
	v_fmac_f32_e32 v19, 0x3e9e377a, v25
	v_fmac_f32_e32 v2, 0x3e9e377a, v32
	v_fmac_f32_e32 v1, 0x3e9e377a, v24
	v_fmac_f32_e32 v4, 0x3e9e377a, v32
	v_fmac_f32_e32 v6, 0x3e9e377a, v23
	v_fmac_f32_e32 v3, 0x3e9e377a, v24
	v_fmac_f32_e32 v5, 0x3e9e377a, v25
	ds_write2_b64 v10, v[7:8], v[19:20] offset0:72 offset1:240
	ds_write2_b64 v11, v[1:2], v[3:4] offset0:24 offset1:192
	ds_write_b64 v9, v[5:6] offset:12096
.LBB0_18:
	s_or_b64 exec, exec, s[6:7]
	v_cmp_gt_u64_e32 vcc, s[16:17], v[17:18]
	s_waitcnt lgkmcnt(0)
	s_or_b64 s[0:1], s[0:1], vcc
	s_barrier
	s_and_saveexec_b64 s[6:7], s[0:1]
	s_cbranch_execz .LBB0_20
; %bb.19:
	s_load_dwordx2 s[0:1], s[4:5], 0x8
	s_movk_i32 s4, 0x89
	v_mul_lo_u16_sdwa v1, v39, s4 dst_sel:DWORD dst_unused:UNUSED_PAD src0_sel:BYTE_0 src1_sel:DWORD
	v_lshrrev_b16_e32 v1, 14, v1
	v_mul_lo_u16_e32 v1, 0x78, v1
	v_sub_u16_e32 v1, v39, v1
	v_and_b32_e32 v11, 0xff, v1
	v_add_u32_e32 v1, 0x78, v11
	v_mul_lo_u32 v1, v17, v1
	v_lshlrev_b32_e32 v2, 3, v11
	v_mov_b32_e32 v12, 3
	global_load_dwordx2 v[3:4], v2, s[14:15] offset:944
	v_lshlrev_b32_sdwa v2, v12, v1 dst_sel:DWORD dst_unused:UNUSED_PAD src0_sel:DWORD src1_sel:BYTE_0
	v_lshlrev_b32_sdwa v1, v12, v1 dst_sel:DWORD dst_unused:UNUSED_PAD src0_sel:DWORD src1_sel:BYTE_1
	s_waitcnt lgkmcnt(0)
	global_load_dwordx2 v[5:6], v2, s[0:1]
	global_load_dwordx2 v[14:15], v1, s[0:1] offset:2048
	v_mul_i32_i24_e32 v1, 56, v39
	v_add3_u32 v16, 0, v1, v45
	ds_read_b64 v[22:23], v16
	v_mul_lo_u32 v16, v17, v11
	s_movk_i32 s4, 0x118
	v_subrev_u32_e32 v8, 40, v35
	v_cmp_gt_u32_e32 vcc, s4, v0
	v_add_u32_e32 v7, 0x2a00, v40
	v_mov_b32_e32 v2, 0
	s_movk_i32 s5, 0x1a4
	v_cndmask_b32_e32 v1, v8, v38, vcc
	v_lshlrev_b32_sdwa v30, v12, v16 dst_sel:DWORD dst_unused:UNUSED_PAD src0_sel:DWORD src1_sel:BYTE_0
	v_subrev_u32_e32 v9, 60, v35
	s_movk_i32 s6, 0x230
	ds_read2_b64 v[18:21], v7 offset0:56 offset1:196
	v_cmp_gt_u32_e32 vcc, s5, v0
	v_lshlrev_b64 v[24:25], 3, v[1:2]
	v_lshlrev_b32_sdwa v16, v12, v16 dst_sel:DWORD dst_unused:UNUSED_PAD src0_sel:DWORD src1_sel:BYTE_1
	global_load_dwordx2 v[26:27], v30, s[0:1]
	global_load_dwordx2 v[28:29], v16, s[0:1] offset:2048
	v_add_u32_e32 v10, 0xffffffb0, v35
	v_cndmask_b32_e32 v7, v9, v37, vcc
	v_cmp_gt_u32_e32 vcc, s6, v0
	v_mov_b32_e32 v13, s15
	v_cndmask_b32_e32 v9, v10, v36, vcc
	v_add_co_u32_e32 v24, vcc, s14, v24
	v_add_u32_e32 v32, 0x78, v1
	v_addc_co_u32_e32 v25, vcc, v13, v25, vcc
	v_mul_lo_u32 v16, v17, v32
	global_load_dwordx2 v[24:25], v[24:25], off offset:944
	v_mov_b32_e32 v10, v2
	v_lshlrev_b64 v[45:46], 3, v[9:10]
	v_lshlrev_b32_sdwa v10, v12, v16 dst_sel:DWORD dst_unused:UNUSED_PAD src0_sel:DWORD src1_sel:BYTE_0
	v_lshlrev_b32_sdwa v16, v12, v16 dst_sel:DWORD dst_unused:UNUSED_PAD src0_sel:DWORD src1_sel:BYTE_1
	global_load_dwordx2 v[47:48], v10, s[0:1]
	global_load_dwordx2 v[49:50], v16, s[0:1] offset:2048
	v_mul_lo_u32 v51, v17, v1
	v_mov_b32_e32 v8, v2
	v_lshlrev_b64 v[30:31], 3, v[7:8]
	v_add_u32_e32 v8, 0x78, v7
	v_add_co_u32_e32 v30, vcc, s14, v30
	v_lshlrev_b32_sdwa v10, v12, v51 dst_sel:DWORD dst_unused:UNUSED_PAD src0_sel:DWORD src1_sel:BYTE_0
	v_addc_co_u32_e32 v31, vcc, v13, v31, vcc
	v_lshlrev_b32_sdwa v16, v12, v51 dst_sel:DWORD dst_unused:UNUSED_PAD src0_sel:DWORD src1_sel:BYTE_1
	global_load_dwordx2 v[51:52], v10, s[0:1]
	global_load_dwordx2 v[53:54], v16, s[0:1] offset:2048
	global_load_dwordx2 v[55:56], v[30:31], off offset:944
	v_mul_lo_u32 v32, v17, v7
	v_mul_lo_u32 v8, v17, v8
	v_add_co_u32_e32 v45, vcc, s14, v45
	v_lshlrev_b32_sdwa v10, v12, v32 dst_sel:DWORD dst_unused:UNUSED_PAD src0_sel:DWORD src1_sel:BYTE_0
	v_lshlrev_b32_sdwa v16, v12, v32 dst_sel:DWORD dst_unused:UNUSED_PAD src0_sel:DWORD src1_sel:BYTE_1
	v_lshlrev_b32_sdwa v32, v12, v8 dst_sel:DWORD dst_unused:UNUSED_PAD src0_sel:DWORD src1_sel:BYTE_0
	v_lshlrev_b32_sdwa v8, v12, v8 dst_sel:DWORD dst_unused:UNUSED_PAD src0_sel:DWORD src1_sel:BYTE_1
	v_addc_co_u32_e32 v46, vcc, v13, v46, vcc
	s_movk_i32 s4, 0x2bc
	v_cmp_gt_u32_e32 vcc, s4, v0
	s_movk_i32 s4, 0x348
	s_waitcnt vmcnt(10) lgkmcnt(0)
	v_mul_f32_e32 v57, v20, v4
	v_mul_f32_e32 v4, v21, v4
	v_fmac_f32_e32 v57, v21, v3
	v_fma_f32 v3, v20, v3, -v4
	s_waitcnt vmcnt(8)
	v_mul_f32_e32 v4, v6, v15
	v_mul_f32_e32 v20, v5, v15
	v_fma_f32 v5, v5, v14, -v4
	v_fmac_f32_e32 v20, v6, v14
	global_load_dwordx2 v[14:15], v32, s[0:1]
	global_load_dwordx2 v[30:31], v8, s[0:1] offset:2048
	v_sub_f32_e32 v6, v23, v57
	global_load_dwordx2 v[57:58], v10, s[0:1]
	global_load_dwordx2 v[59:60], v16, s[0:1] offset:2048
	global_load_dwordx2 v[61:62], v[45:46], off offset:944
	v_sub_f32_e32 v8, v22, v3
	v_mul_f32_e32 v4, v8, v20
	v_mul_f32_e32 v3, v6, v20
	v_fmac_f32_e32 v4, v6, v5
	v_fma_f32 v3, v8, v5, -v3
	v_fma_f32 v5, v23, 2.0, -v6
	v_fma_f32 v8, v22, 2.0, -v8
	s_waitcnt vmcnt(11)
	v_mul_f32_e32 v16, v26, v29
	v_mul_f32_e32 v6, v27, v29
	v_fmac_f32_e32 v16, v27, v28
	v_fma_f32 v10, v26, v28, -v6
	v_mul_f32_e32 v6, v8, v16
	v_fmac_f32_e32 v6, v5, v10
	v_mul_f32_e32 v5, v5, v16
	v_fma_f32 v5, v8, v10, -v5
	s_waitcnt vmcnt(10)
	v_mul_f32_e32 v8, v25, v18
	v_fmac_f32_e32 v8, v24, v19
	v_mul_f32_e32 v10, v25, v19
	ds_read_b64 v[19:20], v41
	v_fma_f32 v10, v24, v18, -v10
	s_waitcnt vmcnt(8)
	v_mul_f32_e32 v18, v47, v50
	v_mul_f32_e32 v16, v48, v50
	v_fmac_f32_e32 v18, v48, v49
	s_waitcnt lgkmcnt(0)
	v_sub_f32_e32 v8, v20, v8
	v_sub_f32_e32 v10, v19, v10
	v_fma_f32 v16, v47, v49, -v16
	v_mul_f32_e32 v29, v10, v18
	v_mul_f32_e32 v18, v8, v18
	v_fma_f32 v28, v10, v16, -v18
	v_add_u32_e32 v18, 0x2000, v40
	ds_read_b64 v[22:23], v44
	ds_read_b64 v[24:25], v43
	;; [unrolled: 1-line block ×3, first 2 shown]
	v_fmac_f32_e32 v29, v8, v16
	v_fma_f32 v8, v20, 2.0, -v8
	v_fma_f32 v10, v19, 2.0, -v10
	ds_read2_b64 v[18:21], v18 offset0:96 offset1:236
	s_waitcnt vmcnt(6)
	v_mul_f32_e32 v32, v51, v54
	v_mul_f32_e32 v16, v52, v54
	v_fmac_f32_e32 v32, v52, v53
	v_fma_f32 v16, v51, v53, -v16
	v_mul_f32_e32 v43, v10, v32
	v_fmac_f32_e32 v43, v8, v16
	v_mul_f32_e32 v8, v8, v32
	ds_read_b64 v[44:45], v42
	v_fma_f32 v42, v10, v16, -v8
	s_waitcnt vmcnt(5) lgkmcnt(1)
	v_mul_f32_e32 v8, v56, v20
	v_fmac_f32_e32 v8, v55, v21
	v_mul_f32_e32 v16, v56, v21
	v_add_u32_e32 v21, 0x78, v9
	v_mul_lo_u32 v21, v17, v21
	v_fma_f32 v16, v55, v20, -v16
	s_waitcnt lgkmcnt(0)
	v_sub_f32_e32 v8, v45, v8
	v_sub_f32_e32 v16, v44, v16
	v_lshlrev_b32_sdwa v46, v12, v21 dst_sel:DWORD dst_unused:UNUSED_PAD src0_sel:DWORD src1_sel:BYTE_0
	v_lshlrev_b32_sdwa v47, v12, v21 dst_sel:DWORD dst_unused:UNUSED_PAD src0_sel:DWORD src1_sel:BYTE_1
	s_waitcnt vmcnt(3)
	v_mul_f32_e32 v10, v15, v31
	v_fma_f32 v10, v14, v30, -v10
	v_mul_f32_e32 v14, v14, v31
	s_waitcnt vmcnt(1)
	v_mul_f32_e32 v20, v58, v60
	v_fmac_f32_e32 v14, v15, v30
	v_fma_f32 v32, v57, v59, -v20
	global_load_dwordx2 v[20:21], v46, s[0:1]
	global_load_dwordx2 v[30:31], v47, s[0:1] offset:2048
	v_mul_lo_u32 v46, v17, v9
	s_waitcnt vmcnt(2)
	v_mul_f32_e32 v55, v62, v18
	v_fmac_f32_e32 v55, v61, v19
	v_mul_f32_e32 v19, v62, v19
	v_lshlrev_b32_sdwa v48, v12, v46 dst_sel:DWORD dst_unused:UNUSED_PAD src0_sel:DWORD src1_sel:BYTE_0
	v_fma_f32 v56, v61, v18, -v19
	v_lshlrev_b32_sdwa v49, v12, v46 dst_sel:DWORD dst_unused:UNUSED_PAD src0_sel:DWORD src1_sel:BYTE_1
	global_load_dwordx2 v[18:19], v48, s[0:1]
	global_load_dwordx2 v[46:47], v49, s[0:1] offset:2048
	v_add_u32_e32 v48, 0xffffff9c, v35
	v_cndmask_b32_e32 v48, v48, v34, vcc
	v_mov_b32_e32 v49, v2
	v_lshlrev_b64 v[49:50], 3, v[48:49]
	v_add_u32_e32 v51, 0x78, v48
	v_add_co_u32_e32 v49, vcc, s14, v49
	v_addc_co_u32_e32 v50, vcc, v13, v50, vcc
	global_load_dwordx2 v[49:50], v[49:50], off offset:944
	v_mul_lo_u32 v51, v17, v51
	v_mul_f32_e32 v41, v57, v60
	v_fmac_f32_e32 v41, v58, v59
	v_mul_f32_e32 v15, v16, v14
	v_lshlrev_b32_sdwa v57, v12, v51 dst_sel:DWORD dst_unused:UNUSED_PAD src0_sel:DWORD src1_sel:BYTE_0
	v_lshlrev_b32_sdwa v58, v12, v51 dst_sel:DWORD dst_unused:UNUSED_PAD src0_sel:DWORD src1_sel:BYTE_1
	global_load_dwordx2 v[51:52], v57, s[0:1]
	global_load_dwordx2 v[53:54], v58, s[0:1] offset:2048
	v_mul_f32_e32 v14, v8, v14
	v_fma_f32 v14, v16, v10, -v14
	v_fmac_f32_e32 v15, v8, v10
	v_fma_f32 v10, v44, 2.0, -v16
	v_fma_f32 v8, v45, 2.0, -v8
	v_mul_f32_e32 v45, v10, v41
	v_fmac_f32_e32 v45, v8, v32
	v_mul_f32_e32 v8, v8, v41
	v_fma_f32 v44, v10, v32, -v8
	v_sub_f32_e32 v8, v25, v55
	v_sub_f32_e32 v16, v24, v56
	v_mul_lo_u32 v32, v17, v48
	v_cmp_gt_u32_e32 vcc, s4, v0
	s_waitcnt vmcnt(5)
	v_mul_f32_e32 v10, v21, v31
	v_fma_f32 v10, v20, v30, -v10
	v_mul_f32_e32 v20, v20, v31
	v_fmac_f32_e32 v20, v21, v30
	v_mul_f32_e32 v31, v16, v20
	v_mul_f32_e32 v20, v8, v20
	v_fmac_f32_e32 v31, v8, v10
	v_fma_f32 v30, v16, v10, -v20
	s_waitcnt vmcnt(3)
	v_mul_f32_e32 v10, v19, v47
	v_fma_f32 v10, v18, v46, -v10
	v_fma_f32 v16, v24, 2.0, -v16
	v_mul_f32_e32 v24, v18, v47
	v_add_u32_e32 v18, 0x1800, v40
	v_fmac_f32_e32 v24, v19, v46
	ds_read2_b64 v[18:21], v18 offset0:72 offset1:212
	v_fma_f32 v8, v25, 2.0, -v8
	v_mul_f32_e32 v25, v16, v24
	v_fmac_f32_e32 v25, v8, v10
	v_mul_f32_e32 v8, v8, v24
	v_fma_f32 v24, v16, v10, -v8
	v_lshlrev_b32_sdwa v10, v12, v32 dst_sel:DWORD dst_unused:UNUSED_PAD src0_sel:DWORD src1_sel:BYTE_0
	v_lshlrev_b32_sdwa v16, v12, v32 dst_sel:DWORD dst_unused:UNUSED_PAD src0_sel:DWORD src1_sel:BYTE_1
	global_load_dwordx2 v[40:41], v10, s[0:1]
	global_load_dwordx2 v[46:47], v16, s[0:1] offset:2048
	s_waitcnt vmcnt(4) lgkmcnt(0)
	v_mul_f32_e32 v16, v50, v21
	v_mul_f32_e32 v8, v50, v20
	v_fma_f32 v16, v49, v20, -v16
	v_add_u32_e32 v20, 0xffffff88, v35
	v_cndmask_b32_e32 v20, v20, v35, vcc
	v_fmac_f32_e32 v8, v49, v21
	v_mov_b32_e32 v21, v2
	v_add_u32_e32 v2, 0x78, v20
	v_lshlrev_b64 v[49:50], 3, v[20:21]
	v_mul_lo_u32 v2, v17, v2
	v_add_co_u32_e32 v49, vcc, s14, v49
	v_addc_co_u32_e32 v50, vcc, v13, v50, vcc
	s_waitcnt vmcnt(2)
	v_mul_f32_e32 v10, v52, v54
	v_mul_f32_e32 v32, v51, v54
	global_load_dwordx2 v[49:50], v[49:50], off offset:944
	v_lshlrev_b32_sdwa v13, v12, v2 dst_sel:DWORD dst_unused:UNUSED_PAD src0_sel:DWORD src1_sel:BYTE_0
	v_fma_f32 v10, v51, v53, -v10
	v_fmac_f32_e32 v32, v52, v53
	v_lshlrev_b32_sdwa v2, v12, v2 dst_sel:DWORD dst_unused:UNUSED_PAD src0_sel:DWORD src1_sel:BYTE_1
	global_load_dwordx2 v[51:52], v13, s[0:1]
	global_load_dwordx2 v[53:54], v2, s[0:1] offset:2048
	v_mul_lo_u32 v13, v17, v20
	v_sub_f32_e32 v2, v23, v8
	v_sub_f32_e32 v8, v22, v16
	v_mul_f32_e32 v17, v8, v32
	v_mul_f32_e32 v16, v2, v32
	v_fmac_f32_e32 v17, v2, v10
	v_fma_f32 v16, v8, v10, -v16
	v_lshlrev_b32_sdwa v10, v12, v13 dst_sel:DWORD dst_unused:UNUSED_PAD src0_sel:DWORD src1_sel:BYTE_0
	v_lshlrev_b32_sdwa v21, v12, v13 dst_sel:DWORD dst_unused:UNUSED_PAD src0_sel:DWORD src1_sel:BYTE_1
	global_load_dwordx2 v[12:13], v10, s[0:1]
	global_load_dwordx2 v[55:56], v21, s[0:1] offset:2048
	v_fma_f32 v8, v22, 2.0, -v8
	v_fma_f32 v2, v23, 2.0, -v2
	v_mov_b32_e32 v23, 0xf0
	s_waitcnt vmcnt(5)
	v_mul_f32_e32 v21, v40, v47
	v_mul_f32_e32 v10, v41, v47
	v_fmac_f32_e32 v21, v41, v46
	v_fma_f32 v10, v40, v46, -v10
	v_mul_f32_e32 v22, v8, v21
	v_fmac_f32_e32 v22, v2, v10
	v_mul_f32_e32 v2, v2, v21
	v_fma_f32 v21, v8, v10, -v2
	s_waitcnt vmcnt(4)
	v_mul_f32_e32 v2, v50, v18
	v_mul_f32_e32 v10, v50, v19
	v_fmac_f32_e32 v2, v49, v19
	v_fma_f32 v10, v49, v18, -v10
	v_sub_f32_e32 v2, v27, v2
	s_waitcnt vmcnt(2)
	v_mul_f32_e32 v18, v51, v54
	v_mul_f32_e32 v8, v52, v54
	v_sub_f32_e32 v10, v26, v10
	v_fmac_f32_e32 v18, v52, v53
	v_fma_f32 v8, v51, v53, -v8
	v_mul_f32_e32 v19, v10, v18
	v_mul_f32_e32 v18, v2, v18
	v_fmac_f32_e32 v19, v2, v8
	v_fma_f32 v18, v10, v8, -v18
	v_fma_f32 v2, v27, 2.0, -v2
	v_fma_f32 v10, v26, 2.0, -v10
	v_mad_u64_u32 v[26:27], s[0:1], s10, v33, 0
	s_movk_i32 s0, 0x347
	v_cmp_lt_u32_e32 vcc, s0, v0
	v_cndmask_b32_e32 v0, 0, v23, vcc
	v_add_u32_e32 v20, v20, v0
	v_mad_u64_u32 v[40:41], s[0:1], s8, v20, 0
	v_mov_b32_e32 v0, v27
	s_waitcnt vmcnt(0)
	v_mul_f32_e32 v8, v13, v56
	v_mad_u64_u32 v[32:33], s[0:1], s11, v33, v[0:1]
	v_mov_b32_e32 v0, v41
	v_fma_f32 v8, v12, v55, -v8
	v_mul_f32_e32 v12, v12, v56
	v_mad_u64_u32 v[46:47], s[0:1], s9, v20, v[0:1]
	v_fmac_f32_e32 v12, v13, v55
	s_lshl_b64 s[0:1], s[2:3], 3
	v_mul_f32_e32 v13, v10, v12
	s_add_u32 s2, s12, s0
	v_fmac_f32_e32 v13, v2, v8
	v_mul_f32_e32 v0, v2, v12
	v_mov_b32_e32 v27, v32
	s_addc_u32 s0, s13, s1
	v_add_u32_e32 v2, 0x78, v20
	v_fma_f32 v12, v10, v8, -v0
	v_lshlrev_b64 v[26:27], 3, v[26:27]
	v_mov_b32_e32 v0, s0
	v_mad_u64_u32 v[32:33], s[0:1], s8, v2, 0
	v_mov_b32_e32 v41, v46
	v_add_co_u32_e32 v20, vcc, s2, v26
	v_addc_co_u32_e32 v23, vcc, v0, v27, vcc
	v_lshlrev_b64 v[26:27], 3, v[40:41]
	v_mov_b32_e32 v0, v33
	v_mad_u64_u32 v[40:41], s[0:1], s9, v2, v[0:1]
	v_add_co_u32_e32 v26, vcc, v20, v26
	v_sub_u32_e32 v0, v34, v48
	v_addc_co_u32_e32 v27, vcc, v23, v27, vcc
	v_add_u32_e32 v2, v0, v34
	global_store_dwordx2 v[26:27], v[12:13], off
	v_mad_u64_u32 v[26:27], s[0:1], s8, v2, 0
	v_mov_b32_e32 v33, v40
	v_lshlrev_b64 v[12:13], 3, v[32:33]
	v_mov_b32_e32 v0, v27
	v_mad_u64_u32 v[32:33], s[0:1], s9, v2, v[0:1]
	v_add_u32_e32 v2, 0x78, v2
	v_mad_u64_u32 v[33:34], s[0:1], s8, v2, 0
	v_add_co_u32_e32 v12, vcc, v20, v12
	v_addc_co_u32_e32 v13, vcc, v23, v13, vcc
	v_mov_b32_e32 v0, v34
	global_store_dwordx2 v[12:13], v[18:19], off
	v_mad_u64_u32 v[18:19], s[0:1], s9, v2, v[0:1]
	v_sub_u32_e32 v0, v36, v9
	v_add_u32_e32 v2, v0, v36
	v_mad_u64_u32 v[8:9], s[0:1], s8, v2, 0
	v_mov_b32_e32 v27, v32
	v_lshlrev_b64 v[12:13], 3, v[26:27]
	v_mov_b32_e32 v0, v9
	v_add_co_u32_e32 v12, vcc, v20, v12
	v_mad_u64_u32 v[9:10], s[0:1], s9, v2, v[0:1]
	v_add_u32_e32 v2, 0x78, v2
	v_addc_co_u32_e32 v13, vcc, v23, v13, vcc
	v_mov_b32_e32 v34, v18
	v_mad_u64_u32 v[18:19], s[0:1], s8, v2, 0
	global_store_dwordx2 v[12:13], v[21:22], off
	v_lshlrev_b64 v[12:13], 3, v[33:34]
	v_mov_b32_e32 v0, v19
	v_add_co_u32_e32 v12, vcc, v20, v12
	v_addc_co_u32_e32 v13, vcc, v23, v13, vcc
	global_store_dwordx2 v[12:13], v[16:17], off
	v_mad_u64_u32 v[12:13], s[0:1], s9, v2, v[0:1]
	v_lshlrev_b64 v[8:9], 3, v[8:9]
	v_sub_u32_e32 v0, v37, v7
	v_add_u32_e32 v2, v0, v37
	v_add_co_u32_e32 v8, vcc, v20, v8
	v_mov_b32_e32 v19, v12
	v_mad_u64_u32 v[12:13], s[0:1], s8, v2, 0
	v_addc_co_u32_e32 v9, vcc, v23, v9, vcc
	global_store_dwordx2 v[8:9], v[24:25], off
	v_lshlrev_b64 v[8:9], 3, v[18:19]
	v_mov_b32_e32 v0, v13
	v_add_co_u32_e32 v7, vcc, v20, v8
	v_addc_co_u32_e32 v8, vcc, v23, v9, vcc
	v_mad_u64_u32 v[9:10], s[0:1], s9, v2, v[0:1]
	v_add_u32_e32 v2, 0x78, v2
	v_mad_u64_u32 v[16:17], s[0:1], s8, v2, 0
	v_mov_b32_e32 v13, v9
	global_store_dwordx2 v[7:8], v[30:31], off
	v_mov_b32_e32 v0, v17
	v_mad_u64_u32 v[9:10], s[0:1], s9, v2, v[0:1]
	v_sub_u32_e32 v0, v38, v1
	v_lshlrev_b64 v[7:8], 3, v[12:13]
	v_mov_b32_e32 v17, v9
	v_add_u32_e32 v9, v0, v38
	v_mad_u64_u32 v[0:1], s[0:1], s8, v9, 0
	v_add_co_u32_e32 v7, vcc, v20, v7
	v_add_u32_e32 v12, 0x78, v9
	v_addc_co_u32_e32 v8, vcc, v23, v8, vcc
	v_mad_u64_u32 v[1:2], s[0:1], s9, v9, v[1:2]
	v_mad_u64_u32 v[9:10], s[0:1], s8, v12, 0
	global_store_dwordx2 v[7:8], v[44:45], off
	v_lshlrev_b64 v[7:8], 3, v[16:17]
	v_mov_b32_e32 v2, v10
	v_add_co_u32_e32 v7, vcc, v20, v7
	v_addc_co_u32_e32 v8, vcc, v23, v8, vcc
	global_store_dwordx2 v[7:8], v[14:15], off
	v_mad_u64_u32 v[7:8], s[0:1], s9, v12, v[2:3]
	v_lshlrev_b64 v[0:1], 3, v[0:1]
	v_sub_u32_e32 v2, v39, v11
	v_add_co_u32_e32 v0, vcc, v20, v0
	v_addc_co_u32_e32 v1, vcc, v23, v1, vcc
	v_mov_b32_e32 v10, v7
	global_store_dwordx2 v[0:1], v[42:43], off
	v_lshlrev_b64 v[0:1], 3, v[9:10]
	v_add_u32_e32 v10, v2, v39
	v_mad_u64_u32 v[7:8], s[0:1], s8, v10, 0
	v_add_u32_e32 v11, 0x78, v10
	v_add_co_u32_e32 v0, vcc, v20, v0
	v_mov_b32_e32 v2, v8
	v_mad_u64_u32 v[8:9], s[0:1], s9, v10, v[2:3]
	v_mad_u64_u32 v[9:10], s[0:1], s8, v11, 0
	v_addc_co_u32_e32 v1, vcc, v23, v1, vcc
	v_mov_b32_e32 v2, v10
	global_store_dwordx2 v[0:1], v[28:29], off
	v_lshlrev_b64 v[0:1], 3, v[7:8]
	v_mad_u64_u32 v[7:8], s[0:1], s9, v11, v[2:3]
	v_add_co_u32_e32 v0, vcc, v20, v0
	v_addc_co_u32_e32 v1, vcc, v23, v1, vcc
	v_mov_b32_e32 v10, v7
	global_store_dwordx2 v[0:1], v[5:6], off
	v_lshlrev_b64 v[0:1], 3, v[9:10]
	v_add_co_u32_e32 v0, vcc, v20, v0
	v_addc_co_u32_e32 v1, vcc, v23, v1, vcc
	global_store_dwordx2 v[0:1], v[3:4], off
.LBB0_20:
	s_endpgm
	.section	.rodata,"a",@progbits
	.p2align	6, 0x0
	.amdhsa_kernel fft_rtc_fwd_len240_factors_2_3_4_5_2_wgs_140_tpt_20_dim3_sp_ip_CI_sbcc_twdbase8_2step_dirReg
		.amdhsa_group_segment_fixed_size 0
		.amdhsa_private_segment_fixed_size 0
		.amdhsa_kernarg_size 88
		.amdhsa_user_sgpr_count 6
		.amdhsa_user_sgpr_private_segment_buffer 1
		.amdhsa_user_sgpr_dispatch_ptr 0
		.amdhsa_user_sgpr_queue_ptr 0
		.amdhsa_user_sgpr_kernarg_segment_ptr 1
		.amdhsa_user_sgpr_dispatch_id 0
		.amdhsa_user_sgpr_flat_scratch_init 0
		.amdhsa_user_sgpr_private_segment_size 0
		.amdhsa_uses_dynamic_stack 0
		.amdhsa_system_sgpr_private_segment_wavefront_offset 0
		.amdhsa_system_sgpr_workgroup_id_x 1
		.amdhsa_system_sgpr_workgroup_id_y 0
		.amdhsa_system_sgpr_workgroup_id_z 0
		.amdhsa_system_sgpr_workgroup_info 0
		.amdhsa_system_vgpr_workitem_id 0
		.amdhsa_next_free_vgpr 63
		.amdhsa_next_free_sgpr 26
		.amdhsa_reserve_vcc 1
		.amdhsa_reserve_flat_scratch 0
		.amdhsa_float_round_mode_32 0
		.amdhsa_float_round_mode_16_64 0
		.amdhsa_float_denorm_mode_32 3
		.amdhsa_float_denorm_mode_16_64 3
		.amdhsa_dx10_clamp 1
		.amdhsa_ieee_mode 1
		.amdhsa_fp16_overflow 0
		.amdhsa_exception_fp_ieee_invalid_op 0
		.amdhsa_exception_fp_denorm_src 0
		.amdhsa_exception_fp_ieee_div_zero 0
		.amdhsa_exception_fp_ieee_overflow 0
		.amdhsa_exception_fp_ieee_underflow 0
		.amdhsa_exception_fp_ieee_inexact 0
		.amdhsa_exception_int_div_zero 0
	.end_amdhsa_kernel
	.text
.Lfunc_end0:
	.size	fft_rtc_fwd_len240_factors_2_3_4_5_2_wgs_140_tpt_20_dim3_sp_ip_CI_sbcc_twdbase8_2step_dirReg, .Lfunc_end0-fft_rtc_fwd_len240_factors_2_3_4_5_2_wgs_140_tpt_20_dim3_sp_ip_CI_sbcc_twdbase8_2step_dirReg
                                        ; -- End function
	.section	.AMDGPU.csdata,"",@progbits
; Kernel info:
; codeLenInByte = 8736
; NumSgprs: 30
; NumVgprs: 63
; ScratchSize: 0
; MemoryBound: 0
; FloatMode: 240
; IeeeMode: 1
; LDSByteSize: 0 bytes/workgroup (compile time only)
; SGPRBlocks: 3
; VGPRBlocks: 15
; NumSGPRsForWavesPerEU: 30
; NumVGPRsForWavesPerEU: 63
; Occupancy: 4
; WaveLimiterHint : 1
; COMPUTE_PGM_RSRC2:SCRATCH_EN: 0
; COMPUTE_PGM_RSRC2:USER_SGPR: 6
; COMPUTE_PGM_RSRC2:TRAP_HANDLER: 0
; COMPUTE_PGM_RSRC2:TGID_X_EN: 1
; COMPUTE_PGM_RSRC2:TGID_Y_EN: 0
; COMPUTE_PGM_RSRC2:TGID_Z_EN: 0
; COMPUTE_PGM_RSRC2:TIDIG_COMP_CNT: 0
	.type	__hip_cuid_445c7fc3fc44a163,@object ; @__hip_cuid_445c7fc3fc44a163
	.section	.bss,"aw",@nobits
	.globl	__hip_cuid_445c7fc3fc44a163
__hip_cuid_445c7fc3fc44a163:
	.byte	0                               ; 0x0
	.size	__hip_cuid_445c7fc3fc44a163, 1

	.ident	"AMD clang version 19.0.0git (https://github.com/RadeonOpenCompute/llvm-project roc-6.4.0 25133 c7fe45cf4b819c5991fe208aaa96edf142730f1d)"
	.section	".note.GNU-stack","",@progbits
	.addrsig
	.addrsig_sym __hip_cuid_445c7fc3fc44a163
	.amdgpu_metadata
---
amdhsa.kernels:
  - .args:
      - .actual_access:  read_only
        .address_space:  global
        .offset:         0
        .size:           8
        .value_kind:     global_buffer
      - .address_space:  global
        .offset:         8
        .size:           8
        .value_kind:     global_buffer
      - .actual_access:  read_only
        .address_space:  global
        .offset:         16
        .size:           8
        .value_kind:     global_buffer
      - .actual_access:  read_only
        .address_space:  global
        .offset:         24
        .size:           8
        .value_kind:     global_buffer
      - .offset:         32
        .size:           8
        .value_kind:     by_value
      - .actual_access:  read_only
        .address_space:  global
        .offset:         40
        .size:           8
        .value_kind:     global_buffer
      - .actual_access:  read_only
        .address_space:  global
        .offset:         48
        .size:           8
        .value_kind:     global_buffer
      - .offset:         56
        .size:           4
        .value_kind:     by_value
      - .actual_access:  read_only
        .address_space:  global
        .offset:         64
        .size:           8
        .value_kind:     global_buffer
      - .actual_access:  read_only
        .address_space:  global
        .offset:         72
        .size:           8
        .value_kind:     global_buffer
      - .address_space:  global
        .offset:         80
        .size:           8
        .value_kind:     global_buffer
    .group_segment_fixed_size: 0
    .kernarg_segment_align: 8
    .kernarg_segment_size: 88
    .language:       OpenCL C
    .language_version:
      - 2
      - 0
    .max_flat_workgroup_size: 140
    .name:           fft_rtc_fwd_len240_factors_2_3_4_5_2_wgs_140_tpt_20_dim3_sp_ip_CI_sbcc_twdbase8_2step_dirReg
    .private_segment_fixed_size: 0
    .sgpr_count:     30
    .sgpr_spill_count: 0
    .symbol:         fft_rtc_fwd_len240_factors_2_3_4_5_2_wgs_140_tpt_20_dim3_sp_ip_CI_sbcc_twdbase8_2step_dirReg.kd
    .uniform_work_group_size: 1
    .uses_dynamic_stack: false
    .vgpr_count:     63
    .vgpr_spill_count: 0
    .wavefront_size: 64
amdhsa.target:   amdgcn-amd-amdhsa--gfx906
amdhsa.version:
  - 1
  - 2
...

	.end_amdgpu_metadata
